;; amdgpu-corpus repo=zjin-lcf/HeCBench kind=compiled arch=gfx1030 opt=O3
	.amdgcn_target "amdgcn-amd-amdhsa--gfx1030"
	.amdhsa_code_object_version 6
	.text
	.protected	_Z7kernel1PiPKiiiiii    ; -- Begin function _Z7kernel1PiPKiiiiii
	.globl	_Z7kernel1PiPKiiiiii
	.p2align	8
	.type	_Z7kernel1PiPKiiiiii,@function
_Z7kernel1PiPKiiiiii:                   ; @_Z7kernel1PiPKiiiiii
; %bb.0:
	s_load_dwordx8 s[16:23], s[4:5], 0x0
	s_not_b32 s0, s6
	s_lshl_b32 s1, s6, 4
	s_load_dword s33, s[4:5], 0x20
	v_cmp_eq_u32_e32 vcc_lo, 0, v0
	s_waitcnt lgkmcnt(0)
	s_add_i32 s0, s23, s0
	s_add_i32 s1, s21, s1
	s_lshl_b32 s0, s0, 4
	s_add_i32 s0, s0, s20
	s_mul_i32 s0, s0, s22
	s_add_i32 s2, s1, s0
	v_add_nc_u32_e32 v1, s2, v0
	v_ashrrev_i32_e32 v2, 31, v1
	v_lshlrev_b64 v[3:4], 2, v[1:2]
	s_and_saveexec_b32 s1, vcc_lo
	s_cbranch_execz .LBB0_2
; %bb.1:
	v_add_co_u32 v5, s0, s16, v3
	v_add_co_ci_u32_e64 v6, null, s17, v4, s0
	global_load_dword v5, v[5:6], off
	v_mov_b32_e32 v6, 0
	s_waitcnt vmcnt(0)
	ds_write_b32 v6, v5
.LBB0_2:
	s_or_b32 exec_lo, exec_lo, s1
	s_ashr_i32 s23, s22, 31
	v_add_co_u32 v1, s0, s22, v1
	v_add_co_ci_u32_e64 v2, null, s23, v2, s0
	s_lshl_b32 s20, s22, 1
	s_lshl_b64 s[14:15], s[22:23], 2
	s_ashr_i32 s21, s20, 31
	v_lshlrev_b64 v[5:6], 2, v[1:2]
	s_mul_i32 s24, s22, 3
	s_lshl_b64 s[4:5], s[20:21], 2
	s_ashr_i32 s25, s24, 31
	s_mul_i32 s26, s22, 5
	s_mul_i32 s28, s22, 6
	v_add_co_u32 v5, s0, s18, v5
	v_add_co_ci_u32_e64 v6, null, s19, v6, s0
	s_lshl_b32 s18, s22, 2
	v_add_co_u32 v7, s0, v5, s14
	v_add_co_ci_u32_e64 v8, null, s15, v6, s0
	v_add_co_u32 v9, s0, v5, s4
	v_add_co_ci_u32_e64 v10, null, s5, v6, s0
	s_lshl_b64 s[0:1], s[24:25], 2
	s_ashr_i32 s19, s18, 31
	v_add_co_u32 v11, s0, v5, s0
	v_add_co_ci_u32_e64 v12, null, s1, v6, s0
	s_lshl_b64 s[0:1], s[18:19], 2
	s_ashr_i32 s27, s26, 31
	;; [unrolled: 4-line block ×3, first 2 shown]
	v_add_co_u32 v15, s0, v5, s0
	v_add_co_ci_u32_e64 v16, null, s1, v6, s0
	s_mul_i32 s30, s22, 7
	s_lshl_b64 s[0:1], s[28:29], 2
	s_ashr_i32 s31, s30, 31
	v_add_co_u32 v17, s0, v5, s0
	v_add_co_ci_u32_e64 v18, null, s1, v6, s0
	s_lshl_b64 s[0:1], s[30:31], 2
	s_lshl_b32 s34, s22, 3
	v_add_co_u32 v19, s0, v5, s0
	s_ashr_i32 s35, s34, 31
	v_add_co_ci_u32_e64 v20, null, s1, v6, s0
	s_mul_i32 s36, s22, 9
	s_lshl_b64 s[0:1], s[34:35], 2
	s_clause 0x7
	global_load_dword v23, v[5:6], off offset:4
	global_load_dword v24, v[7:8], off offset:4
	global_load_dword v25, v[9:10], off offset:4
	global_load_dword v26, v[11:12], off offset:4
	global_load_dword v27, v[13:14], off offset:4
	global_load_dword v28, v[15:16], off offset:4
	global_load_dword v29, v[17:18], off offset:4
	global_load_dword v30, v[19:20], off offset:4
	s_ashr_i32 s37, s36, 31
	v_add_co_u32 v7, s0, v5, s0
	v_add_co_ci_u32_e64 v8, null, s1, v6, s0
	s_lshl_b64 s[0:1], s[36:37], 2
	s_mul_i32 s38, s22, 10
	v_add_co_u32 v9, s0, v5, s0
	s_ashr_i32 s39, s38, 31
	v_add_co_ci_u32_e64 v10, null, s1, v6, s0
	s_mul_i32 s40, s22, 11
	s_lshl_b64 s[0:1], s[38:39], 2
	v_add_nc_u32_e32 v31, 1, v0
	s_ashr_i32 s41, s40, 31
	v_add_co_u32 v11, s0, v5, s0
	v_add_co_ci_u32_e64 v12, null, s1, v6, s0
	s_lshl_b64 s[0:1], s[40:41], 2
	s_mul_i32 s42, s22, 12
	v_mad_u64_u32 v[17:18], null, s22, v31, s[2:3]
	v_add_co_u32 v13, s0, v5, s0
	s_ashr_i32 s43, s42, 31
	v_add_co_ci_u32_e64 v14, null, s1, v6, s0
	s_mul_i32 s44, s22, 13
	s_lshl_b64 s[0:1], s[42:43], 2
	s_ashr_i32 s45, s44, 31
	v_add_co_u32 v15, s0, v5, s0
	v_add_co_ci_u32_e64 v16, null, s1, v6, s0
	s_lshl_b64 s[0:1], s[44:45], 2
	s_mul_i32 s46, s22, 14
	v_ashrrev_i32_e32 v18, 31, v17
	v_add_co_u32 v19, s0, v5, s0
	s_ashr_i32 s47, s46, 31
	v_add_co_ci_u32_e64 v20, null, s1, v6, s0
	s_mul_i32 s22, s22, 15
	s_lshl_b64 s[0:1], s[46:47], 2
	s_ashr_i32 s23, s22, 31
	v_add_co_u32 v21, s0, v5, s0
	v_lshlrev_b64 v[17:18], 2, v[17:18]
	v_add_co_ci_u32_e64 v22, null, s1, v6, s0
	s_lshl_b64 s[0:1], s[22:23], 2
	v_add_co_u32 v5, s0, v5, s0
	v_add_co_ci_u32_e64 v6, null, s1, v6, s0
	v_add_co_u32 v17, s0, s16, v17
	v_add_co_ci_u32_e64 v18, null, s17, v18, s0
	;; [unrolled: 2-line block ×3, first 2 shown]
	s_clause 0x7
	global_load_dword v7, v[7:8], off offset:4
	global_load_dword v8, v[9:10], off offset:4
	;; [unrolled: 1-line block ×8, first 2 shown]
	s_clause 0x1
	global_load_dword v15, v[17:18], off
	global_load_dword v16, v[3:4], off offset:4
	v_lshlrev_b32_e32 v5, 2, v0
	v_mul_u32_u24_e32 v19, 0x44, v31
	v_add_nc_u32_e32 v17, 0x400, v5
	v_add_nc_u32_e32 v6, 0x490, v5
	;; [unrolled: 1-line block ×3, first 2 shown]
	s_waitcnt vmcnt(16)
	ds_write2_b32 v17, v23, v24 offset0:36 offset1:52
	s_waitcnt vmcnt(14)
	ds_write2_b32 v17, v25, v26 offset0:68 offset1:84
	;; [unrolled: 2-line block ×8, first 2 shown]
	s_waitcnt vmcnt(1)
	ds_write_b32 v19, v15
	s_waitcnt vmcnt(0)
	ds_write_b32 v5, v16 offset:4
	s_waitcnt lgkmcnt(0)
	s_barrier
	buffer_gl0_inv
	s_and_saveexec_b32 s0, vcc_lo
	s_cbranch_execz .LBB0_4
; %bb.3:
	ds_read2_b32 v[7:8], v5 offset1:1
	ds_read_b32 v9, v5 offset:68
	ds_read_b32 v10, v6
	s_waitcnt lgkmcnt(2)
	v_subrev_nc_u32_e32 v8, s33, v8
	s_waitcnt lgkmcnt(1)
	v_subrev_nc_u32_e32 v9, s33, v9
	s_waitcnt lgkmcnt(0)
	v_add_nc_u32_e32 v7, v10, v7
	v_max3_i32 v7, v7, v9, v8
	ds_write_b32 v5, v7 offset:72
.LBB0_4:
	s_or_b32 exec_lo, exec_lo, s0
	v_cmp_gt_u32_e64 s0, 2, v0
	s_waitcnt lgkmcnt(0)
	s_barrier
	buffer_gl0_inv
	s_and_saveexec_b32 s1, s0
	s_cbranch_execz .LBB0_6
; %bb.5:
	v_sub_nc_u32_e32 v7, 1, v0
	v_mul_u32_u24_e32 v8, 17, v7
	v_lshl_add_u32 v7, v7, 6, v6
	v_lshl_add_u32 v9, v8, 2, v5
	ds_read_b32 v10, v7
	ds_read2_b32 v[7:8], v9 offset1:1
	ds_read_b32 v11, v9 offset:68
	s_waitcnt lgkmcnt(1)
	v_add_nc_u32_e32 v7, v10, v7
	s_waitcnt lgkmcnt(0)
	v_subrev_nc_u32_e32 v10, s33, v11
	v_subrev_nc_u32_e32 v8, s33, v8
	v_max3_i32 v7, v7, v10, v8
	ds_write_b32 v9, v7 offset:72
.LBB0_6:
	s_or_b32 exec_lo, exec_lo, s1
	v_cmp_gt_u32_e64 s1, 3, v0
	s_waitcnt lgkmcnt(0)
	s_barrier
	buffer_gl0_inv
	s_and_saveexec_b32 s2, s1
	s_cbranch_execz .LBB0_8
; %bb.7:
	v_sub_nc_u32_e32 v7, 2, v0
	v_mul_u32_u24_e32 v8, 17, v7
	v_lshl_add_u32 v7, v7, 6, v6
	v_lshl_add_u32 v9, v8, 2, v5
	ds_read_b32 v10, v7
	ds_read2_b32 v[7:8], v9 offset1:1
	ds_read_b32 v11, v9 offset:68
	s_waitcnt lgkmcnt(1)
	v_add_nc_u32_e32 v7, v10, v7
	s_waitcnt lgkmcnt(0)
	v_subrev_nc_u32_e32 v10, s33, v11
	v_subrev_nc_u32_e32 v8, s33, v8
	v_max3_i32 v7, v7, v10, v8
	ds_write_b32 v9, v7 offset:72
.LBB0_8:
	;; [unrolled: 23-line block ×14, first 2 shown]
	s_or_b32 exec_lo, exec_lo, s48
	v_sub_co_u32 v9, s48, 15, v0
	s_xor_b32 s48, s48, -1
	s_waitcnt lgkmcnt(0)
	s_barrier
	v_mul_i32_i24_e32 v7, 17, v9
	v_lshlrev_b32_e32 v8, 6, v9
	buffer_gl0_inv
	s_and_saveexec_b32 s49, s48
	s_xor_b32 s48, exec_lo, s49
	s_cbranch_execz .LBB0_34
; %bb.33:
	v_lshlrev_b32_e32 v8, 6, v9
	v_lshl_add_u32 v11, v7, 2, v5
	v_add_nc_u32_e32 v6, v6, v8
	ds_read2_b32 v[9:10], v11 offset1:1
	ds_read_b32 v6, v6
	ds_read_b32 v12, v11 offset:68
	s_waitcnt lgkmcnt(2)
	v_subrev_nc_u32_e32 v10, s33, v10
	s_waitcnt lgkmcnt(1)
	v_add_nc_u32_e32 v6, v6, v9
	s_waitcnt lgkmcnt(0)
	v_subrev_nc_u32_e32 v9, s33, v12
	v_max3_i32 v6, v6, v9, v10
	ds_write_b32 v11, v6 offset:72
.LBB0_34:
	s_andn2_saveexec_b32 s48, s48
	s_or_b32 exec_lo, exec_lo, s48
	v_sub_nc_u32_e32 v0, 16, v0
	v_lshlrev_b32_e32 v6, 2, v7
	v_add_nc_u32_e32 v7, 0x490, v8
	s_waitcnt lgkmcnt(0)
	s_barrier
	v_mul_i32_i24_e32 v0, 0x44, v0
	buffer_gl0_inv
	s_and_saveexec_b32 s48, s13
	s_cbranch_execz .LBB0_36
; %bb.35:
	v_add_nc_u32_e32 v8, v6, v5
	v_add_nc_u32_e32 v10, v7, v5
	v_add_nc_u32_e32 v11, v0, v5
	ds_read2_b32 v[8:9], v8 offset0:1 offset1:2
	ds_read_b32 v10, v10 offset:4
	ds_read_b32 v12, v11 offset:4
	s_waitcnt lgkmcnt(2)
	v_subrev_nc_u32_e32 v9, s33, v9
	s_waitcnt lgkmcnt(1)
	v_add_nc_u32_e32 v8, v10, v8
	s_waitcnt lgkmcnt(0)
	v_subrev_nc_u32_e32 v10, s33, v12
	v_max3_i32 v8, v8, v10, v9
	ds_write_b32 v11, v8 offset:8
.LBB0_36:
	s_or_b32 exec_lo, exec_lo, s48
	s_waitcnt lgkmcnt(0)
	s_barrier
	buffer_gl0_inv
	s_and_saveexec_b32 s13, s12
	s_cbranch_execz .LBB0_38
; %bb.37:
	v_add_nc_u32_e32 v8, v6, v5
	v_add_nc_u32_e32 v10, v7, v5
	v_add_nc_u32_e32 v11, v0, v5
	ds_read2_b32 v[8:9], v8 offset0:2 offset1:3
	ds_read_b32 v10, v10 offset:8
	ds_read_b32 v12, v11 offset:8
	s_waitcnt lgkmcnt(2)
	v_subrev_nc_u32_e32 v9, s33, v9
	s_waitcnt lgkmcnt(1)
	v_add_nc_u32_e32 v8, v10, v8
	s_waitcnt lgkmcnt(0)
	v_subrev_nc_u32_e32 v10, s33, v12
	v_max3_i32 v8, v8, v10, v9
	ds_write_b32 v11, v8 offset:12
.LBB0_38:
	s_or_b32 exec_lo, exec_lo, s13
	s_waitcnt lgkmcnt(0)
	s_barrier
	;; [unrolled: 22-line block ×14, first 2 shown]
	buffer_gl0_inv
	s_and_saveexec_b32 s0, vcc_lo
	s_cbranch_execz .LBB0_64
; %bb.63:
	ds_read2_b32 v[8:9], v6 offset0:15 offset1:16
	ds_read_b32 v6, v7 offset:60
	ds_read_b32 v7, v0 offset:60
	s_waitcnt lgkmcnt(1)
	v_add_nc_u32_e32 v6, v6, v8
	s_waitcnt lgkmcnt(0)
	v_subrev_nc_u32_e32 v7, s33, v7
	v_subrev_nc_u32_e32 v8, s33, v9
	v_max3_i32 v6, v6, v7, v8
	ds_write_b32 v0, v6 offset:64
.LBB0_64:
	s_or_b32 exec_lo, exec_lo, s0
	v_add_co_u32 v6, vcc_lo, s20, v1
	v_add_co_ci_u32_e64 v7, null, s21, v2, vcc_lo
	v_add_co_u32 v8, vcc_lo, s24, v1
	v_add_co_ci_u32_e64 v9, null, s25, v2, vcc_lo
	;; [unrolled: 2-line block ×9, first 2 shown]
	v_add_co_u32 v24, vcc_lo, s40, v1
	s_waitcnt lgkmcnt(0)
	s_barrier
	buffer_gl0_inv
	ds_read2_b32 v[30:31], v5 offset0:18 offset1:35
	v_add_co_ci_u32_e64 v25, null, s41, v2, vcc_lo
	v_add_co_u32 v26, vcc_lo, s42, v1
	ds_read2_b32 v[34:35], v5 offset0:52 offset1:69
	v_add_co_ci_u32_e64 v27, null, s43, v2, vcc_lo
	v_add_co_u32 v28, vcc_lo, s44, v1
	v_add_co_ci_u32_e64 v29, null, s45, v2, vcc_lo
	v_add_co_u32 v32, vcc_lo, s46, v1
	v_add_co_ci_u32_e64 v33, null, s47, v2, vcc_lo
	v_add_co_u32 v3, vcc_lo, v3, s14
	v_lshlrev_b64 v[6:7], 2, v[6:7]
	v_add_co_ci_u32_e64 v4, null, s15, v4, vcc_lo
	v_add_co_u32 v36, vcc_lo, v3, s14
	v_lshlrev_b64 v[12:13], 2, v[12:13]
	v_add_co_ci_u32_e64 v37, null, s15, v4, vcc_lo
	v_add_co_u32 v6, vcc_lo, s16, v6
	v_add_co_ci_u32_e64 v7, null, s17, v7, vcc_lo
	s_waitcnt lgkmcnt(1)
	global_store_dword v[3:4], v30, off offset:4
	global_store_dword v[36:37], v31, off offset:4
	v_add_co_u32 v0, vcc_lo, s22, v1
	s_waitcnt lgkmcnt(0)
	global_store_dword v[6:7], v34, off offset:4
	ds_read2_b32 v[6:7], v5 offset0:86 offset1:103
	v_add_co_ci_u32_e64 v1, null, s23, v2, vcc_lo
	v_lshlrev_b64 v[2:3], 2, v[8:9]
	v_lshlrev_b64 v[8:9], 2, v[10:11]
	ds_read2_b32 v[10:11], v5 offset0:120 offset1:137
	v_lshlrev_b64 v[14:15], 2, v[14:15]
	v_lshlrev_b64 v[0:1], 2, v[0:1]
	v_add_co_u32 v2, vcc_lo, s16, v2
	v_add_co_ci_u32_e64 v3, null, s17, v3, vcc_lo
	v_add_co_u32 v8, vcc_lo, s16, v8
	v_add_co_ci_u32_e64 v9, null, s17, v9, vcc_lo
	;; [unrolled: 2-line block ×3, first 2 shown]
	v_add_co_u32 v14, vcc_lo, s16, v14
	global_store_dword v[2:3], v35, off offset:4
	s_waitcnt lgkmcnt(1)
	global_store_dword v[8:9], v6, off offset:4
	global_store_dword v[12:13], v7, off offset:4
	ds_read2_b32 v[6:7], v5 offset0:154 offset1:171
	v_add_co_ci_u32_e64 v15, null, s17, v15, vcc_lo
	ds_read2_b32 v[12:13], v5 offset0:188 offset1:205
	v_lshlrev_b64 v[2:3], 2, v[16:17]
	v_lshlrev_b64 v[8:9], 2, v[18:19]
	s_waitcnt lgkmcnt(2)
	global_store_dword v[14:15], v10, off offset:4
	v_lshlrev_b64 v[14:15], 2, v[20:21]
	v_lshlrev_b64 v[16:17], 2, v[22:23]
	v_add_nc_u32_e32 v10, 0x400, v5
	v_add_co_u32 v2, vcc_lo, s16, v2
	v_add_co_ci_u32_e64 v3, null, s17, v3, vcc_lo
	v_add_co_u32 v8, vcc_lo, s16, v8
	v_add_co_ci_u32_e64 v9, null, s17, v9, vcc_lo
	;; [unrolled: 2-line block ×4, first 2 shown]
	global_store_dword v[2:3], v11, off offset:4
	s_waitcnt lgkmcnt(1)
	global_store_dword v[8:9], v6, off offset:4
	global_store_dword v[14:15], v7, off offset:4
	s_waitcnt lgkmcnt(0)
	global_store_dword v[16:17], v12, off offset:4
	ds_read2_b32 v[4:5], v5 offset0:222 offset1:239
	v_lshlrev_b64 v[2:3], 2, v[24:25]
	ds_read2_b32 v[10:11], v10 offset1:17
	v_lshlrev_b64 v[6:7], 2, v[26:27]
	v_lshlrev_b64 v[8:9], 2, v[28:29]
	;; [unrolled: 1-line block ×3, first 2 shown]
	v_add_co_u32 v2, vcc_lo, s16, v2
	v_add_co_ci_u32_e64 v3, null, s17, v3, vcc_lo
	v_add_co_u32 v6, vcc_lo, s16, v6
	v_add_co_ci_u32_e64 v7, null, s17, v7, vcc_lo
	;; [unrolled: 2-line block ×5, first 2 shown]
	global_store_dword v[2:3], v13, off offset:4
	s_waitcnt lgkmcnt(1)
	global_store_dword v[6:7], v4, off offset:4
	global_store_dword v[8:9], v5, off offset:4
	s_waitcnt lgkmcnt(0)
	global_store_dword v[14:15], v10, off offset:4
	global_store_dword v[0:1], v11, off offset:4
	s_endpgm
	.section	.rodata,"a",@progbits
	.p2align	6, 0x0
	.amdhsa_kernel _Z7kernel1PiPKiiiiii
		.amdhsa_group_segment_fixed_size 2192
		.amdhsa_private_segment_fixed_size 0
		.amdhsa_kernarg_size 36
		.amdhsa_user_sgpr_count 6
		.amdhsa_user_sgpr_private_segment_buffer 1
		.amdhsa_user_sgpr_dispatch_ptr 0
		.amdhsa_user_sgpr_queue_ptr 0
		.amdhsa_user_sgpr_kernarg_segment_ptr 1
		.amdhsa_user_sgpr_dispatch_id 0
		.amdhsa_user_sgpr_flat_scratch_init 0
		.amdhsa_user_sgpr_private_segment_size 0
		.amdhsa_wavefront_size32 1
		.amdhsa_uses_dynamic_stack 0
		.amdhsa_system_sgpr_private_segment_wavefront_offset 0
		.amdhsa_system_sgpr_workgroup_id_x 1
		.amdhsa_system_sgpr_workgroup_id_y 0
		.amdhsa_system_sgpr_workgroup_id_z 0
		.amdhsa_system_sgpr_workgroup_info 0
		.amdhsa_system_vgpr_workitem_id 0
		.amdhsa_next_free_vgpr 38
		.amdhsa_next_free_sgpr 50
		.amdhsa_reserve_vcc 1
		.amdhsa_reserve_flat_scratch 0
		.amdhsa_float_round_mode_32 0
		.amdhsa_float_round_mode_16_64 0
		.amdhsa_float_denorm_mode_32 3
		.amdhsa_float_denorm_mode_16_64 3
		.amdhsa_dx10_clamp 1
		.amdhsa_ieee_mode 1
		.amdhsa_fp16_overflow 0
		.amdhsa_workgroup_processor_mode 1
		.amdhsa_memory_ordered 1
		.amdhsa_forward_progress 1
		.amdhsa_shared_vgpr_count 0
		.amdhsa_exception_fp_ieee_invalid_op 0
		.amdhsa_exception_fp_denorm_src 0
		.amdhsa_exception_fp_ieee_div_zero 0
		.amdhsa_exception_fp_ieee_overflow 0
		.amdhsa_exception_fp_ieee_underflow 0
		.amdhsa_exception_fp_ieee_inexact 0
		.amdhsa_exception_int_div_zero 0
	.end_amdhsa_kernel
	.text
.Lfunc_end0:
	.size	_Z7kernel1PiPKiiiiii, .Lfunc_end0-_Z7kernel1PiPKiiiiii
                                        ; -- End function
	.set _Z7kernel1PiPKiiiiii.num_vgpr, 38
	.set _Z7kernel1PiPKiiiiii.num_agpr, 0
	.set _Z7kernel1PiPKiiiiii.numbered_sgpr, 50
	.set _Z7kernel1PiPKiiiiii.num_named_barrier, 0
	.set _Z7kernel1PiPKiiiiii.private_seg_size, 0
	.set _Z7kernel1PiPKiiiiii.uses_vcc, 1
	.set _Z7kernel1PiPKiiiiii.uses_flat_scratch, 0
	.set _Z7kernel1PiPKiiiiii.has_dyn_sized_stack, 0
	.set _Z7kernel1PiPKiiiiii.has_recursion, 0
	.set _Z7kernel1PiPKiiiiii.has_indirect_call, 0
	.section	.AMDGPU.csdata,"",@progbits
; Kernel info:
; codeLenInByte = 5268
; TotalNumSgprs: 52
; NumVgprs: 38
; ScratchSize: 0
; MemoryBound: 0
; FloatMode: 240
; IeeeMode: 1
; LDSByteSize: 2192 bytes/workgroup (compile time only)
; SGPRBlocks: 0
; VGPRBlocks: 4
; NumSGPRsForWavesPerEU: 52
; NumVGPRsForWavesPerEU: 38
; Occupancy: 16
; WaveLimiterHint : 0
; COMPUTE_PGM_RSRC2:SCRATCH_EN: 0
; COMPUTE_PGM_RSRC2:USER_SGPR: 6
; COMPUTE_PGM_RSRC2:TRAP_HANDLER: 0
; COMPUTE_PGM_RSRC2:TGID_X_EN: 1
; COMPUTE_PGM_RSRC2:TGID_Y_EN: 0
; COMPUTE_PGM_RSRC2:TGID_Z_EN: 0
; COMPUTE_PGM_RSRC2:TIDIG_COMP_CNT: 0
	.text
	.protected	_Z7kernel2PiPKiiiiiii   ; -- Begin function _Z7kernel2PiPKiiiiiii
	.globl	_Z7kernel2PiPKiiiiiii
	.p2align	8
	.type	_Z7kernel2PiPKiiiiiii,@function
_Z7kernel2PiPKiiiiiii:                  ; @_Z7kernel2PiPKiiiiiii
; %bb.0:
	s_clause 0x1
	s_load_dwordx8 s[16:23], s[4:5], 0x0
	s_load_dwordx2 s[14:15], s[4:5], 0x20
	s_not_b32 s0, s6
	v_cmp_eq_u32_e32 vcc_lo, 0, v0
	s_waitcnt lgkmcnt(0)
	s_add_i32 s0, s20, s0
	s_add_i32 s1, s20, s6
	s_lshl_b32 s0, s0, 4
	s_sub_i32 s1, s1, s14
	s_add_i32 s0, s0, s21
	s_lshl_b32 s1, s1, 4
	s_mul_i32 s0, s0, s23
	s_add_i32 s1, s1, s22
	s_add_i32 s2, s1, s0
	s_and_saveexec_b32 s0, vcc_lo
	s_cbranch_execz .LBB1_2
; %bb.1:
	s_ashr_i32 s3, s2, 31
	v_mov_b32_e32 v1, 0
	s_lshl_b64 s[4:5], s[2:3], 2
	s_add_u32 s4, s16, s4
	s_addc_u32 s5, s17, s5
	s_load_dword s1, s[4:5], 0x0
	s_waitcnt lgkmcnt(0)
	v_mov_b32_e32 v2, s1
	ds_write_b32 v1, v2
.LBB1_2:
	s_or_b32 exec_lo, exec_lo, s0
	v_add_nc_u32_e32 v3, s2, v0
	s_ashr_i32 s1, s23, 31
	s_lshl_b32 s24, s23, 1
	s_mul_i32 s26, s23, 3
	s_ashr_i32 s25, s24, 31
	v_ashrrev_i32_e32 v4, 31, v3
	v_add_co_u32 v1, s0, s23, v3
	s_lshl_b64 s[4:5], s[24:25], 2
	s_ashr_i32 s27, s26, 31
	v_add_co_ci_u32_e64 v2, null, s1, v4, s0
	s_mov_b32 s0, s23
	s_mul_i32 s28, s23, 5
	s_lshl_b64 s[20:21], s[0:1], 2
	v_lshlrev_b64 v[5:6], 2, v[1:2]
	s_ashr_i32 s29, s28, 31
	s_mul_i32 s30, s23, 6
	s_mul_i32 s34, s23, 7
	s_ashr_i32 s31, s30, 31
	s_ashr_i32 s35, s34, 31
	v_add_co_u32 v5, s0, s18, v5
	v_add_co_ci_u32_e64 v6, null, s19, v6, s0
	s_lshl_b32 s18, s23, 2
	v_add_co_u32 v7, s0, v5, s20
	v_add_co_ci_u32_e64 v8, null, s21, v6, s0
	v_add_co_u32 v9, s0, v5, s4
	v_add_co_ci_u32_e64 v10, null, s5, v6, s0
	s_lshl_b64 s[0:1], s[26:27], 2
	s_ashr_i32 s19, s18, 31
	v_add_co_u32 v11, s0, v5, s0
	v_add_co_ci_u32_e64 v12, null, s1, v6, s0
	s_lshl_b64 s[0:1], s[18:19], 2
	s_lshl_b32 s36, s23, 3
	v_add_co_u32 v13, s0, v5, s0
	v_add_co_ci_u32_e64 v14, null, s1, v6, s0
	s_lshl_b64 s[0:1], s[28:29], 2
	s_ashr_i32 s37, s36, 31
	v_add_co_u32 v15, s0, v5, s0
	v_add_co_ci_u32_e64 v16, null, s1, v6, s0
	s_lshl_b64 s[0:1], s[30:31], 2
	s_mul_i32 s38, s23, 9
	v_add_co_u32 v17, s0, v5, s0
	v_add_co_ci_u32_e64 v18, null, s1, v6, s0
	s_lshl_b64 s[0:1], s[34:35], 2
	s_ashr_i32 s39, s38, 31
	v_add_co_u32 v19, s0, v5, s0
	v_add_co_ci_u32_e64 v20, null, s1, v6, s0
	s_lshl_b64 s[0:1], s[36:37], 2
	s_clause 0x7
	global_load_dword v23, v[5:6], off offset:4
	global_load_dword v24, v[7:8], off offset:4
	;; [unrolled: 1-line block ×8, first 2 shown]
	v_add_co_u32 v7, s0, v5, s0
	v_add_co_ci_u32_e64 v8, null, s1, v6, s0
	s_lshl_b64 s[0:1], s[38:39], 2
	s_mul_i32 s40, s23, 10
	v_add_nc_u32_e32 v31, 1, v0
	v_add_co_u32 v9, s0, v5, s0
	s_ashr_i32 s41, s40, 31
	v_add_co_ci_u32_e64 v10, null, s1, v6, s0
	s_mul_i32 s42, s23, 11
	s_lshl_b64 s[0:1], s[40:41], 2
	v_mad_u64_u32 v[15:16], null, s23, v31, s[2:3]
	s_ashr_i32 s43, s42, 31
	v_add_co_u32 v11, s0, v5, s0
	v_add_co_ci_u32_e64 v12, null, s1, v6, s0
	s_lshl_b64 s[0:1], s[42:43], 2
	s_mul_i32 s44, s23, 12
	v_add_co_u32 v13, s0, v5, s0
	s_ashr_i32 s45, s44, 31
	v_add_co_ci_u32_e64 v14, null, s1, v6, s0
	s_mul_i32 s48, s23, 13
	s_lshl_b64 s[0:1], s[44:45], 2
	v_ashrrev_i32_e32 v16, 31, v15
	s_ashr_i32 s49, s48, 31
	v_add_co_u32 v17, s0, v5, s0
	v_add_co_ci_u32_e64 v18, null, s1, v6, s0
	s_lshl_b64 s[0:1], s[48:49], 2
	s_mul_i32 s46, s23, 14
	v_add_co_u32 v19, s0, v5, s0
	s_ashr_i32 s47, s46, 31
	v_lshlrev_b64 v[15:16], 2, v[15:16]
	v_add_co_ci_u32_e64 v20, null, s1, v6, s0
	s_lshl_b64 s[0:1], s[46:47], 2
	v_lshlrev_b64 v[3:4], 2, v[3:4]
	v_add_co_u32 v21, s0, v5, s0
	s_mul_i32 s22, s23, 15
	v_add_co_ci_u32_e64 v22, null, s1, v6, s0
	v_add_co_u32 v15, s0, s16, v15
	s_ashr_i32 s23, s22, 31
	v_add_co_ci_u32_e64 v16, null, s17, v16, s0
	v_add_co_u32 v3, s0, s16, v3
	s_lshl_b64 s[2:3], s[22:23], 2
	v_add_co_ci_u32_e64 v4, null, s17, v4, s0
	v_add_co_u32 v5, s0, v5, s2
	v_add_co_ci_u32_e64 v6, null, s3, v6, s0
	s_clause 0x1
	global_load_dword v15, v[15:16], off
	global_load_dword v16, v[3:4], off offset:4
	s_clause 0x7
	global_load_dword v7, v[7:8], off offset:4
	global_load_dword v8, v[9:10], off offset:4
	;; [unrolled: 1-line block ×8, first 2 shown]
	v_lshlrev_b32_e32 v5, 2, v0
	v_mul_u32_u24_e32 v17, 0x44, v31
	v_add_nc_u32_e32 v6, 0x490, v5
	v_add_nc_u32_e32 v18, 0x400, v5
	;; [unrolled: 1-line block ×3, first 2 shown]
	s_waitcnt vmcnt(9)
	ds_write_b32 v17, v15
	s_waitcnt vmcnt(8)
	ds_write_b32 v5, v16 offset:4
	ds_write2_b32 v18, v23, v24 offset0:36 offset1:52
	ds_write2_b32 v18, v25, v26 offset0:68 offset1:84
	;; [unrolled: 1-line block ×4, first 2 shown]
	s_waitcnt vmcnt(6)
	ds_write2_b32 v18, v7, v8 offset0:164 offset1:180
	s_waitcnt vmcnt(4)
	ds_write2_b32 v18, v9, v10 offset0:196 offset1:212
	;; [unrolled: 2-line block ×4, first 2 shown]
	s_waitcnt lgkmcnt(0)
	s_barrier
	buffer_gl0_inv
	s_and_saveexec_b32 s0, vcc_lo
	s_cbranch_execz .LBB1_4
; %bb.3:
	ds_read2_b32 v[7:8], v5 offset1:1
	ds_read_b32 v9, v5 offset:68
	ds_read_b32 v10, v6
	s_waitcnt lgkmcnt(2)
	v_subrev_nc_u32_e32 v8, s15, v8
	s_waitcnt lgkmcnt(1)
	v_subrev_nc_u32_e32 v9, s15, v9
	s_waitcnt lgkmcnt(0)
	v_add_nc_u32_e32 v7, v10, v7
	v_max3_i32 v7, v7, v9, v8
	ds_write_b32 v5, v7 offset:72
.LBB1_4:
	s_or_b32 exec_lo, exec_lo, s0
	v_cmp_gt_u32_e64 s0, 2, v0
	s_waitcnt lgkmcnt(0)
	s_barrier
	buffer_gl0_inv
	s_and_saveexec_b32 s1, s0
	s_cbranch_execz .LBB1_6
; %bb.5:
	v_sub_nc_u32_e32 v7, 1, v0
	v_mul_u32_u24_e32 v8, 17, v7
	v_lshl_add_u32 v7, v7, 6, v6
	v_lshl_add_u32 v9, v8, 2, v5
	ds_read_b32 v10, v7
	ds_read2_b32 v[7:8], v9 offset1:1
	ds_read_b32 v11, v9 offset:68
	s_waitcnt lgkmcnt(1)
	v_add_nc_u32_e32 v7, v10, v7
	s_waitcnt lgkmcnt(0)
	v_subrev_nc_u32_e32 v10, s15, v11
	v_subrev_nc_u32_e32 v8, s15, v8
	v_max3_i32 v7, v7, v10, v8
	ds_write_b32 v9, v7 offset:72
.LBB1_6:
	s_or_b32 exec_lo, exec_lo, s1
	v_cmp_gt_u32_e64 s1, 3, v0
	s_waitcnt lgkmcnt(0)
	s_barrier
	buffer_gl0_inv
	s_and_saveexec_b32 s2, s1
	s_cbranch_execz .LBB1_8
; %bb.7:
	v_sub_nc_u32_e32 v7, 2, v0
	v_mul_u32_u24_e32 v8, 17, v7
	v_lshl_add_u32 v7, v7, 6, v6
	v_lshl_add_u32 v9, v8, 2, v5
	ds_read_b32 v10, v7
	ds_read2_b32 v[7:8], v9 offset1:1
	ds_read_b32 v11, v9 offset:68
	s_waitcnt lgkmcnt(1)
	v_add_nc_u32_e32 v7, v10, v7
	s_waitcnt lgkmcnt(0)
	v_subrev_nc_u32_e32 v10, s15, v11
	v_subrev_nc_u32_e32 v8, s15, v8
	v_max3_i32 v7, v7, v10, v8
	ds_write_b32 v9, v7 offset:72
.LBB1_8:
	;; [unrolled: 23-line block ×14, first 2 shown]
	s_or_b32 exec_lo, exec_lo, s14
	v_sub_co_u32 v9, s14, 15, v0
	s_xor_b32 s14, s14, -1
	s_waitcnt lgkmcnt(0)
	s_barrier
	v_mul_i32_i24_e32 v7, 17, v9
	v_lshlrev_b32_e32 v8, 6, v9
	buffer_gl0_inv
	s_and_saveexec_b32 s33, s14
	s_xor_b32 s14, exec_lo, s33
	s_cbranch_execz .LBB1_34
; %bb.33:
	v_lshlrev_b32_e32 v8, 6, v9
	v_lshl_add_u32 v11, v7, 2, v5
	v_add_nc_u32_e32 v6, v6, v8
	ds_read2_b32 v[9:10], v11 offset1:1
	ds_read_b32 v6, v6
	ds_read_b32 v12, v11 offset:68
	s_waitcnt lgkmcnt(2)
	v_subrev_nc_u32_e32 v10, s15, v10
	s_waitcnt lgkmcnt(1)
	v_add_nc_u32_e32 v6, v6, v9
	s_waitcnt lgkmcnt(0)
	v_subrev_nc_u32_e32 v9, s15, v12
	v_max3_i32 v6, v6, v9, v10
	ds_write_b32 v11, v6 offset:72
.LBB1_34:
	s_andn2_saveexec_b32 s14, s14
	s_or_b32 exec_lo, exec_lo, s14
	v_sub_nc_u32_e32 v0, 16, v0
	v_lshlrev_b32_e32 v6, 2, v7
	v_add_nc_u32_e32 v7, 0x490, v8
	s_waitcnt lgkmcnt(0)
	s_barrier
	v_mul_i32_i24_e32 v0, 0x44, v0
	buffer_gl0_inv
	s_and_saveexec_b32 s14, s13
	s_cbranch_execz .LBB1_36
; %bb.35:
	v_add_nc_u32_e32 v8, v6, v5
	v_add_nc_u32_e32 v10, v7, v5
	v_add_nc_u32_e32 v11, v0, v5
	ds_read2_b32 v[8:9], v8 offset0:1 offset1:2
	ds_read_b32 v10, v10 offset:4
	ds_read_b32 v12, v11 offset:4
	s_waitcnt lgkmcnt(2)
	v_subrev_nc_u32_e32 v9, s15, v9
	s_waitcnt lgkmcnt(1)
	v_add_nc_u32_e32 v8, v10, v8
	s_waitcnt lgkmcnt(0)
	v_subrev_nc_u32_e32 v10, s15, v12
	v_max3_i32 v8, v8, v10, v9
	ds_write_b32 v11, v8 offset:8
.LBB1_36:
	s_or_b32 exec_lo, exec_lo, s14
	s_waitcnt lgkmcnt(0)
	s_barrier
	buffer_gl0_inv
	s_and_saveexec_b32 s13, s12
	s_cbranch_execz .LBB1_38
; %bb.37:
	v_add_nc_u32_e32 v8, v6, v5
	v_add_nc_u32_e32 v10, v7, v5
	v_add_nc_u32_e32 v11, v0, v5
	ds_read2_b32 v[8:9], v8 offset0:2 offset1:3
	ds_read_b32 v10, v10 offset:8
	ds_read_b32 v12, v11 offset:8
	s_waitcnt lgkmcnt(2)
	v_subrev_nc_u32_e32 v9, s15, v9
	s_waitcnt lgkmcnt(1)
	v_add_nc_u32_e32 v8, v10, v8
	s_waitcnt lgkmcnt(0)
	v_subrev_nc_u32_e32 v10, s15, v12
	v_max3_i32 v8, v8, v10, v9
	ds_write_b32 v11, v8 offset:12
.LBB1_38:
	s_or_b32 exec_lo, exec_lo, s13
	s_waitcnt lgkmcnt(0)
	s_barrier
	;; [unrolled: 22-line block ×14, first 2 shown]
	buffer_gl0_inv
	s_and_saveexec_b32 s0, vcc_lo
	s_cbranch_execz .LBB1_64
; %bb.63:
	ds_read2_b32 v[8:9], v6 offset0:15 offset1:16
	ds_read_b32 v6, v7 offset:60
	ds_read_b32 v7, v0 offset:60
	s_waitcnt lgkmcnt(1)
	v_add_nc_u32_e32 v6, v6, v8
	s_waitcnt lgkmcnt(0)
	v_subrev_nc_u32_e32 v7, s15, v7
	v_subrev_nc_u32_e32 v8, s15, v9
	v_max3_i32 v6, v6, v7, v8
	ds_write_b32 v0, v6 offset:64
.LBB1_64:
	s_or_b32 exec_lo, exec_lo, s0
	v_add_co_u32 v6, vcc_lo, s24, v1
	v_add_co_ci_u32_e64 v7, null, s25, v2, vcc_lo
	v_add_co_u32 v8, vcc_lo, s26, v1
	v_add_co_ci_u32_e64 v9, null, s27, v2, vcc_lo
	;; [unrolled: 2-line block ×9, first 2 shown]
	v_add_co_u32 v24, vcc_lo, s42, v1
	s_waitcnt lgkmcnt(0)
	s_barrier
	buffer_gl0_inv
	ds_read2_b32 v[30:31], v5 offset0:18 offset1:35
	v_add_co_ci_u32_e64 v25, null, s43, v2, vcc_lo
	v_add_co_u32 v26, vcc_lo, s44, v1
	ds_read2_b32 v[34:35], v5 offset0:52 offset1:69
	v_add_co_ci_u32_e64 v27, null, s45, v2, vcc_lo
	v_add_co_u32 v28, vcc_lo, s48, v1
	v_add_co_ci_u32_e64 v29, null, s49, v2, vcc_lo
	v_add_co_u32 v32, vcc_lo, s46, v1
	;; [unrolled: 2-line block ×3, first 2 shown]
	v_lshlrev_b64 v[6:7], 2, v[6:7]
	v_add_co_ci_u32_e64 v4, null, s21, v4, vcc_lo
	v_add_co_u32 v36, vcc_lo, v3, s20
	v_lshlrev_b64 v[12:13], 2, v[12:13]
	v_add_co_ci_u32_e64 v37, null, s21, v4, vcc_lo
	v_add_co_u32 v6, vcc_lo, s16, v6
	v_add_co_ci_u32_e64 v7, null, s17, v7, vcc_lo
	s_waitcnt lgkmcnt(1)
	global_store_dword v[3:4], v30, off offset:4
	global_store_dword v[36:37], v31, off offset:4
	v_add_co_u32 v0, vcc_lo, s22, v1
	s_waitcnt lgkmcnt(0)
	global_store_dword v[6:7], v34, off offset:4
	ds_read2_b32 v[6:7], v5 offset0:86 offset1:103
	v_add_co_ci_u32_e64 v1, null, s23, v2, vcc_lo
	v_lshlrev_b64 v[2:3], 2, v[8:9]
	v_lshlrev_b64 v[8:9], 2, v[10:11]
	ds_read2_b32 v[10:11], v5 offset0:120 offset1:137
	v_lshlrev_b64 v[14:15], 2, v[14:15]
	v_lshlrev_b64 v[0:1], 2, v[0:1]
	v_add_co_u32 v2, vcc_lo, s16, v2
	v_add_co_ci_u32_e64 v3, null, s17, v3, vcc_lo
	v_add_co_u32 v8, vcc_lo, s16, v8
	v_add_co_ci_u32_e64 v9, null, s17, v9, vcc_lo
	;; [unrolled: 2-line block ×3, first 2 shown]
	v_add_co_u32 v14, vcc_lo, s16, v14
	global_store_dword v[2:3], v35, off offset:4
	s_waitcnt lgkmcnt(1)
	global_store_dword v[8:9], v6, off offset:4
	global_store_dword v[12:13], v7, off offset:4
	ds_read2_b32 v[6:7], v5 offset0:154 offset1:171
	v_add_co_ci_u32_e64 v15, null, s17, v15, vcc_lo
	ds_read2_b32 v[12:13], v5 offset0:188 offset1:205
	v_lshlrev_b64 v[2:3], 2, v[16:17]
	v_lshlrev_b64 v[8:9], 2, v[18:19]
	s_waitcnt lgkmcnt(2)
	global_store_dword v[14:15], v10, off offset:4
	v_lshlrev_b64 v[14:15], 2, v[20:21]
	v_lshlrev_b64 v[16:17], 2, v[22:23]
	v_add_nc_u32_e32 v10, 0x400, v5
	v_add_co_u32 v2, vcc_lo, s16, v2
	v_add_co_ci_u32_e64 v3, null, s17, v3, vcc_lo
	v_add_co_u32 v8, vcc_lo, s16, v8
	v_add_co_ci_u32_e64 v9, null, s17, v9, vcc_lo
	;; [unrolled: 2-line block ×4, first 2 shown]
	global_store_dword v[2:3], v11, off offset:4
	s_waitcnt lgkmcnt(1)
	global_store_dword v[8:9], v6, off offset:4
	global_store_dword v[14:15], v7, off offset:4
	s_waitcnt lgkmcnt(0)
	global_store_dword v[16:17], v12, off offset:4
	ds_read2_b32 v[4:5], v5 offset0:222 offset1:239
	v_lshlrev_b64 v[2:3], 2, v[24:25]
	ds_read2_b32 v[10:11], v10 offset1:17
	v_lshlrev_b64 v[6:7], 2, v[26:27]
	v_lshlrev_b64 v[8:9], 2, v[28:29]
	;; [unrolled: 1-line block ×3, first 2 shown]
	v_add_co_u32 v2, vcc_lo, s16, v2
	v_add_co_ci_u32_e64 v3, null, s17, v3, vcc_lo
	v_add_co_u32 v6, vcc_lo, s16, v6
	v_add_co_ci_u32_e64 v7, null, s17, v7, vcc_lo
	;; [unrolled: 2-line block ×5, first 2 shown]
	global_store_dword v[2:3], v13, off offset:4
	s_waitcnt lgkmcnt(1)
	global_store_dword v[6:7], v4, off offset:4
	global_store_dword v[8:9], v5, off offset:4
	s_waitcnt lgkmcnt(0)
	global_store_dword v[14:15], v10, off offset:4
	global_store_dword v[0:1], v11, off offset:4
	s_endpgm
	.section	.rodata,"a",@progbits
	.p2align	6, 0x0
	.amdhsa_kernel _Z7kernel2PiPKiiiiiii
		.amdhsa_group_segment_fixed_size 2192
		.amdhsa_private_segment_fixed_size 0
		.amdhsa_kernarg_size 40
		.amdhsa_user_sgpr_count 6
		.amdhsa_user_sgpr_private_segment_buffer 1
		.amdhsa_user_sgpr_dispatch_ptr 0
		.amdhsa_user_sgpr_queue_ptr 0
		.amdhsa_user_sgpr_kernarg_segment_ptr 1
		.amdhsa_user_sgpr_dispatch_id 0
		.amdhsa_user_sgpr_flat_scratch_init 0
		.amdhsa_user_sgpr_private_segment_size 0
		.amdhsa_wavefront_size32 1
		.amdhsa_uses_dynamic_stack 0
		.amdhsa_system_sgpr_private_segment_wavefront_offset 0
		.amdhsa_system_sgpr_workgroup_id_x 1
		.amdhsa_system_sgpr_workgroup_id_y 0
		.amdhsa_system_sgpr_workgroup_id_z 0
		.amdhsa_system_sgpr_workgroup_info 0
		.amdhsa_system_vgpr_workitem_id 0
		.amdhsa_next_free_vgpr 38
		.amdhsa_next_free_sgpr 50
		.amdhsa_reserve_vcc 1
		.amdhsa_reserve_flat_scratch 0
		.amdhsa_float_round_mode_32 0
		.amdhsa_float_round_mode_16_64 0
		.amdhsa_float_denorm_mode_32 3
		.amdhsa_float_denorm_mode_16_64 3
		.amdhsa_dx10_clamp 1
		.amdhsa_ieee_mode 1
		.amdhsa_fp16_overflow 0
		.amdhsa_workgroup_processor_mode 1
		.amdhsa_memory_ordered 1
		.amdhsa_forward_progress 1
		.amdhsa_shared_vgpr_count 0
		.amdhsa_exception_fp_ieee_invalid_op 0
		.amdhsa_exception_fp_denorm_src 0
		.amdhsa_exception_fp_ieee_div_zero 0
		.amdhsa_exception_fp_ieee_overflow 0
		.amdhsa_exception_fp_ieee_underflow 0
		.amdhsa_exception_fp_ieee_inexact 0
		.amdhsa_exception_int_div_zero 0
	.end_amdhsa_kernel
	.text
.Lfunc_end1:
	.size	_Z7kernel2PiPKiiiiiii, .Lfunc_end1-_Z7kernel2PiPKiiiiiii
                                        ; -- End function
	.set _Z7kernel2PiPKiiiiiii.num_vgpr, 38
	.set _Z7kernel2PiPKiiiiiii.num_agpr, 0
	.set _Z7kernel2PiPKiiiiiii.numbered_sgpr, 50
	.set _Z7kernel2PiPKiiiiiii.num_named_barrier, 0
	.set _Z7kernel2PiPKiiiiiii.private_seg_size, 0
	.set _Z7kernel2PiPKiiiiiii.uses_vcc, 1
	.set _Z7kernel2PiPKiiiiiii.uses_flat_scratch, 0
	.set _Z7kernel2PiPKiiiiiii.has_dyn_sized_stack, 0
	.set _Z7kernel2PiPKiiiiiii.has_recursion, 0
	.set _Z7kernel2PiPKiiiiiii.has_indirect_call, 0
	.section	.AMDGPU.csdata,"",@progbits
; Kernel info:
; codeLenInByte = 5272
; TotalNumSgprs: 52
; NumVgprs: 38
; ScratchSize: 0
; MemoryBound: 0
; FloatMode: 240
; IeeeMode: 1
; LDSByteSize: 2192 bytes/workgroup (compile time only)
; SGPRBlocks: 0
; VGPRBlocks: 4
; NumSGPRsForWavesPerEU: 52
; NumVGPRsForWavesPerEU: 38
; Occupancy: 16
; WaveLimiterHint : 0
; COMPUTE_PGM_RSRC2:SCRATCH_EN: 0
; COMPUTE_PGM_RSRC2:USER_SGPR: 6
; COMPUTE_PGM_RSRC2:TRAP_HANDLER: 0
; COMPUTE_PGM_RSRC2:TGID_X_EN: 1
; COMPUTE_PGM_RSRC2:TGID_Y_EN: 0
; COMPUTE_PGM_RSRC2:TGID_Z_EN: 0
; COMPUTE_PGM_RSRC2:TIDIG_COMP_CNT: 0
	.text
	.p2alignl 6, 3214868480
	.fill 48, 4, 3214868480
	.section	.AMDGPU.gpr_maximums,"",@progbits
	.set amdgpu.max_num_vgpr, 0
	.set amdgpu.max_num_agpr, 0
	.set amdgpu.max_num_sgpr, 0
	.text
	.type	__hip_cuid_d268a1783c274213,@object ; @__hip_cuid_d268a1783c274213
	.section	.bss,"aw",@nobits
	.globl	__hip_cuid_d268a1783c274213
__hip_cuid_d268a1783c274213:
	.byte	0                               ; 0x0
	.size	__hip_cuid_d268a1783c274213, 1

	.ident	"AMD clang version 22.0.0git (https://github.com/RadeonOpenCompute/llvm-project roc-7.2.4 26084 f58b06dce1f9c15707c5f808fd002e18c2accf7e)"
	.section	".note.GNU-stack","",@progbits
	.addrsig
	.addrsig_sym __hip_cuid_d268a1783c274213
	.amdgpu_metadata
---
amdhsa.kernels:
  - .args:
      - .address_space:  global
        .offset:         0
        .size:           8
        .value_kind:     global_buffer
      - .actual_access:  read_only
        .address_space:  global
        .offset:         8
        .size:           8
        .value_kind:     global_buffer
      - .offset:         16
        .size:           4
        .value_kind:     by_value
      - .offset:         20
        .size:           4
        .value_kind:     by_value
      - .offset:         24
        .size:           4
        .value_kind:     by_value
      - .offset:         28
        .size:           4
        .value_kind:     by_value
      - .offset:         32
        .size:           4
        .value_kind:     by_value
    .group_segment_fixed_size: 2192
    .kernarg_segment_align: 8
    .kernarg_segment_size: 36
    .language:       OpenCL C
    .language_version:
      - 2
      - 0
    .max_flat_workgroup_size: 1024
    .name:           _Z7kernel1PiPKiiiiii
    .private_segment_fixed_size: 0
    .sgpr_count:     52
    .sgpr_spill_count: 0
    .symbol:         _Z7kernel1PiPKiiiiii.kd
    .uniform_work_group_size: 1
    .uses_dynamic_stack: false
    .vgpr_count:     38
    .vgpr_spill_count: 0
    .wavefront_size: 32
    .workgroup_processor_mode: 1
  - .args:
      - .address_space:  global
        .offset:         0
        .size:           8
        .value_kind:     global_buffer
      - .actual_access:  read_only
        .address_space:  global
        .offset:         8
        .size:           8
        .value_kind:     global_buffer
      - .offset:         16
        .size:           4
        .value_kind:     by_value
      - .offset:         20
        .size:           4
        .value_kind:     by_value
      - .offset:         24
        .size:           4
        .value_kind:     by_value
      - .offset:         28
        .size:           4
        .value_kind:     by_value
      - .offset:         32
        .size:           4
        .value_kind:     by_value
      - .offset:         36
        .size:           4
        .value_kind:     by_value
    .group_segment_fixed_size: 2192
    .kernarg_segment_align: 8
    .kernarg_segment_size: 40
    .language:       OpenCL C
    .language_version:
      - 2
      - 0
    .max_flat_workgroup_size: 1024
    .name:           _Z7kernel2PiPKiiiiiii
    .private_segment_fixed_size: 0
    .sgpr_count:     52
    .sgpr_spill_count: 0
    .symbol:         _Z7kernel2PiPKiiiiiii.kd
    .uniform_work_group_size: 1
    .uses_dynamic_stack: false
    .vgpr_count:     38
    .vgpr_spill_count: 0
    .wavefront_size: 32
    .workgroup_processor_mode: 1
amdhsa.target:   amdgcn-amd-amdhsa--gfx1030
amdhsa.version:
  - 1
  - 2
...

	.end_amdgpu_metadata
